;; amdgpu-corpus repo=ROCm/aiter kind=harvested arch=n/a opt=n/a

/root/src/amdgpu-assembly/repos/ROCm__aiter/hsa/gfx942/fmha_v3_bwd/bwd_hd128_dq_convert_bf16_rtz.co:	file format elf64-amdgpu

Disassembly of section .text:

0000000000002100 <_ZN5aiter34fmha_bwd_hd128_dq_convert_bf16_rtzE>:
	s_and_b32 s1, s1, 0xffff                                   // 000000002100: 8601FF01 0000FFFF
	s_load_dwordx2 s[12:13], s[0:1], 0x0                       // 000000002108: C0060300 00000000
	s_load_dwordx2 s[16:17], s[0:1], 0x10                      // 000000002110: C0060400 00000010
	s_load_dword s6, s[0:1], 0x20                              // 000000002118: C0020180 00000020
	s_load_dword s8, s[0:1], 0x40                              // 000000002120: C0020200 00000040
	s_load_dword s9, s[0:1], 0x50                              // 000000002128: C0020240 00000050
	s_load_dword s11, s[0:1], 0x70                             // 000000002130: C00202C0 00000070
	s_load_dword s34, s[0:1], 0x90                             // 000000002138: C0020880 00000090
	s_load_dword s7, s[0:1], 0x30                              // 000000002140: C00201C0 00000030
	s_load_dword s10, s[0:1], 0x60                             // 000000002148: C0020280 00000060
	s_load_dword s35, s[0:1], 0x80                             // 000000002150: C00208C0 00000080
	v_lshrrev_b32_e32 v1, 10, v0                               // 000000002158: 2002008A
	v_lshrrev_b32_e32 v2, 10, v1                               // 00000000215C: 2004028A
	v_and_b32_e32 v2, 0x3ff, v2                                // 000000002160: 260404FF 000003FF
	v_and_b32_e32 v1, 0x3ff, v1                                // 000000002168: 260202FF 000003FF
	v_and_b32_e32 v0, 0x3ff, v0                                // 000000002170: 260000FF 000003FF
	v_lshrrev_b32_e32 v3, 6, v0                                // 000000002178: 20060086
	v_and_b32_e32 v0, 63, v0                                   // 00000000217C: 260000BF
	s_mov_b32 s2, s2                                           // 000000002180: BE820002
	s_mov_b32 s3, s3                                           // 000000002184: BE830003
	s_mov_b32 s4, s4                                           // 000000002188: BE840004
	v_readfirstlane_b32 s24, v3                                // 00000000218C: 7E300503
	s_waitcnt lgkmcnt(0)                                       // 000000002190: BF8CC07F
	s_mov_b32 s15, 0x20000                                     // 000000002194: BE8F00FF 00020000
	s_mov_b32 s19, 0x20000                                     // 00000000219C: BE9300FF 00020000
	s_and_b32 s13, s13, 0xffff                                 // 0000000021A4: 860DFF0D 0000FFFF
	s_and_b32 s17, s17, 0xffff                                 // 0000000021AC: 8611FF11 0000FFFF
	s_or_b32 s13, s13, 0x40000                                 // 0000000021B4: 870DFF0D 00040000
	s_or_b32 s17, s17, 0x40000                                 // 0000000021BC: 8711FF11 00040000
	v_mov_b32_e32 v27, 0                                       // 0000000021C4: 7E360280
	s_mov_b32 s20, s12                                         // 0000000021C8: BE94000C
	s_mov_b32 s21, s13                                         // 0000000021CC: BE95000D
	s_mov_b32 s22, s16                                         // 0000000021D0: BE960010
	s_mov_b32 s23, s17                                         // 0000000021D4: BE970011
	s_mov_b32 s38, 0x7060302                                   // 0000000021D8: BEA600FF 07060302
	s_mul_i32 s25, s8, 64                                      // 0000000021E0: 9219C008
	s_mul_i32 s25, s2, s25                                     // 0000000021E4: 92191902
	s_mul_i32 s26, s3, s6                                      // 0000000021E8: 921A0603
	s_add_u32 s28, s25, s26                                    // 0000000021EC: 801C1A19
	s_mul_i32 s26, s35, s8                                     // 0000000021F0: 921A0823
	s_sub_i32 s26, s26, s25                                    // 0000000021F4: 819A191A
	s_mov_b32 s14, s26                                         // 0000000021F8: BE8E001A
	s_add_u32 s12, s28, s20                                    // 0000000021FC: 800C141C
	s_addc_u32 s13, 0, s21                                     // 000000002200: 820D1580
	s_mul_i32 s25, s4, s7                                      // 000000002204: 92190704
	s_mul_hi_u32 s26, s4, s7                                   // 000000002208: 961A0704
	s_and_b32 s26, s26, 0xffff                                 // 00000000220C: 861AFF1A 0000FFFF
	s_add_u32 s12, s12, s25                                    // 000000002214: 800C190C
	s_addc_u32 s13, s13, s26                                   // 000000002218: 820D1A0D
	s_mul_i32 s25, s11, 64                                     // 00000000221C: 9219C00B
	s_mul_i32 s25, s2, s25                                     // 000000002220: 92191902
	s_mul_i32 s26, s3, s9                                      // 000000002224: 921A0903
	s_add_u32 s29, s25, s26                                    // 000000002228: 801D1A19
	s_mul_i32 s26, s35, s11                                    // 00000000222C: 921A0B23
	s_sub_i32 s26, s26, s25                                    // 000000002230: 819A191A
	s_mov_b32 s18, s26                                         // 000000002234: BE92001A
	s_add_u32 s16, s29, s22                                    // 000000002238: 8010161D
	s_addc_u32 s17, 0, s23                                     // 00000000223C: 82111780
	s_mul_i32 s25, s4, s10                                     // 000000002240: 92190A04
	s_mul_hi_u32 s26, s4, s10                                  // 000000002244: 961A0A04
	s_and_b32 s26, s26, 0xffff                                 // 000000002248: 861AFF1A 0000FFFF
	s_add_u32 s16, s16, s25                                    // 000000002250: 80101910
	s_addc_u32 s17, s17, s26                                   // 000000002254: 82111A11
	v_readfirstlane_b32 s24, v3                                // 000000002258: 7E300503
	v_lshrrev_b32_e32 v20, 4, v0                               // 00000000225C: 20280084
	v_mul_i32_i24_e32 v20, s8, v20                             // 000000002260: 0C282808
	v_and_b32_e32 v21, 15, v0                                  // 000000002264: 262A008F
	v_mul_i32_i24_e32 v21, 16, v21                             // 000000002268: 0C2A2A90
	v_add_u32_e32 v21, v20, v21                                // 00000000226C: 682A2B14
	v_mov_b32_e32 v4, v21                                      // 000000002270: 7E080315
	s_mul_i32 s25, 16, s8                                      // 000000002274: 92190890
	s_mul_i32 s25, s24, s25                                    // 000000002278: 92191918
	v_add_u32_e32 v4, s25, v4                                  // 00000000227C: 68080819
	v_mov_b32_e32 v6, 0                                        // 000000002280: 7E0C0280
	v_lshrrev_b32_e32 v20, 5, v0                               // 000000002284: 20280085
	v_lshlrev_b32_e32 v20, 1, v20                              // 000000002288: 24282881
	v_mul_i32_i24_e32 v20, s11, v20                            // 00000000228C: 0C28280B
	v_and_b32_e32 v21, 15, v0                                  // 000000002290: 262A008F
	v_lshlrev_b32_e32 v21, 3, v21                              // 000000002294: 242A2A83
	v_and_b32_e32 v22, 31, v0                                  // 000000002298: 262C009F
	v_lshrrev_b32_e32 v22, 4, v22                              // 00000000229C: 202C2C84
	v_lshlrev_b32_e32 v22, 2, v22                              // 0000000022A0: 242C2C82
	v_add_u32_e32 v6, v20, v6                                  // 0000000022A4: 680C0D14
	v_add_u32_e32 v6, v21, v6                                  // 0000000022A8: 680C0D15
	v_add_u32_e32 v6, v22, v6                                  // 0000000022AC: 680C0D16
	s_mul_i32 s25, 16, s11                                     // 0000000022B0: 92190B90
	s_mul_i32 s25, s24, s25                                    // 0000000022B4: 92191918
	v_add_u32_e32 v6, s25, v6                                  // 0000000022B8: 680C0C19
	v_and_b32_e32 v20, 15, v0                                  // 0000000022BC: 2628008F
	v_lshlrev_b32_e32 v20, 2, v20                              // 0000000022C0: 24282882
	s_sub_i32 s25, s34, 64                                     // 0000000022C4: 8199C022
	v_cmp_lt_u32_e64 s[30:31], v20, s25                        // 0000000022C8: D0C9001E 00003314
	v_and_b32_e32 v20, 15, v0                                  // 0000000022D0: 2628008F
	v_lshrrev_b32_e32 v20, 1, v20                              // 0000000022D4: 20282881
	v_lshlrev_b32_e32 v20, 3, v20                              // 0000000022D8: 24282883
	s_sub_i32 s25, s34, 64                                     // 0000000022DC: 8199C022
	v_cmp_lt_u32_e64 s[32:33], v20, s25                        // 0000000022E0: D0C90020 00003314
	v_mov_b32_e32 v24, 0xffff0000                              // 0000000022E8: 7E3002FF FFFF0000
	v_mov_b32_e32 v25, 0x7fff0000                              // 0000000022F0: 7E3202FF 7FFF0000
	v_mov_b32_e32 v26, 0x7fff                                  // 0000000022F8: 7E3402FF 00007FFF
	s_mul_i32 s25, s8, 0                                       // 000000002300: 92198008
	s_lshl_b32 s25, s25, 2                                     // 000000002304: 8E198219
	v_add_u32_e32 v5, s25, v4                                  // 000000002308: 680A0819
	buffer_load_dwordx4 v[8:11], v5, s[12:15], 0 offen         // 00000000230C: E05C1000 80030805
	v_add_u32_e32 v5, 0x100, v5                                // 000000002314: 680A0AFF 00000100
	s_waitcnt vmcnt(0) expcnt(0) lgkmcnt(0)                    // 00000000231C: BF8C0000
	s_barrier                                                  // 000000002320: BF8A0000
	v_perm_b32 v16, v9, v8, s38                                // 000000002324: D1ED0010 009A1109
	v_perm_b32 v17, v11, v10, s38                              // 00000000232C: D1ED0011 009A150B
	s_nop 1                                                    // 000000002334: BF800001
	s_mul_i32 s25, s24, 0x100                                  // 000000002338: 9219FF18 00000100
	s_lshl_b32 s25, s25, 2                                     // 000000002340: 8E198219
	v_mov_b32_e32 v20, v0                                      // 000000002344: 7E280300
	v_lshlrev_b32_e32 v20, 2, v20                              // 000000002348: 24282882
	v_add_u32_e64 v20, v20, s25                                // 00000000234C: D1340014 00003314
	v_add_u32_e32 v21, 0x100, v20                              // 000000002354: 682A28FF 00000100
	ds_write_b32 v20, v16                                      // 00000000235C: D81A0000 00001014
	ds_write_b32 v21, v17                                      // 000000002364: D81A0000 00001115
	s_barrier                                                  // 00000000236C: BF8A0000
	v_lshrrev_b32_e32 v20, 4, v0                               // 000000002370: 20280084
	v_and_b32_e64 v21, v20, 1                                  // 000000002374: D1130015 00010314
	v_lshrrev_b32_e32 v22, 1, v20                              // 00000000237C: 202C2881
	v_lshlrev_b32_e32 v20, 1, v21                              // 000000002380: 24282A81
	v_add_u32_e32 v20, v20, v22                                // 000000002384: 68282D14
	v_lshlrev_b32_e32 v20, 7, v20                              // 000000002388: 24282887
	v_and_b32_e64 v21, v0, 15                                  // 00000000238C: D1130015 00011F00
	v_lshlrev_b32_e32 v21, 2, v21                              // 000000002394: 242A2A82
	v_add_u32_e32 v20, v21, v20                                // 000000002398: 68282915
	v_add_u32_e64 v20, v20, s25                                // 00000000239C: D1340014 00003314
	v_add_u32_e32 v21, 64, v20                                 // 0000000023A4: 682A28C0
	ds_read_b32 v16, v20                                       // 0000000023A8: D86C0000 10000014
	ds_read_b32 v17, v21                                       // 0000000023B0: D86C0000 11000015
	s_barrier                                                  // 0000000023B8: BF8A0000
	s_nop 1                                                    // 0000000023BC: BF800001
	s_mul_i32 s25, s11, 0                                      // 0000000023C0: 9219800B
	s_lshl_b32 s25, s25, 2                                     // 0000000023C4: 8E198219
	s_lshl_b32 s26, 0, 7                                       // 0000000023C8: 8E1A8780
	v_add_u32_e32 v7, s25, v6                                  // 0000000023CC: 680E0C19
	v_add_u32_e32 v7, s26, v7                                  // 0000000023D0: 680E0E1A
	buffer_store_dword v16, v7, s[16:19], 0 offen              // 0000000023D4: E0701000 80041007
	v_add_u32_e32 v7, s11, v7                                  // 0000000023DC: 680E0E0B
	buffer_store_dword v17, v7, s[16:19], 0 offen              // 0000000023E0: E0701000 80041107
	v_mov_b32_e32 v12, 0                                       // 0000000023E8: 7E180280
	v_mov_b32_e32 v13, 0                                       // 0000000023EC: 7E1A0280
	v_mov_b32_e32 v14, 0                                       // 0000000023F0: 7E1C0280
	v_mov_b32_e32 v15, 0                                       // 0000000023F4: 7E1E0280
	s_mov_b64 exec, s[30:31]                                   // 0000000023F8: BEFE011E
	buffer_load_dwordx4 v[12:15], v5, s[12:15], 0 offen        // 0000000023FC: E05C1000 80030C05
	s_mov_b64 exec, -1                                         // 000000002404: BEFE01C1
	v_add_u32_e32 v5, 0x100, v5                                // 000000002408: 680A0AFF 00000100
	s_waitcnt vmcnt(0) expcnt(0) lgkmcnt(0)                    // 000000002410: BF8C0000
	s_barrier                                                  // 000000002414: BF8A0000
	v_perm_b32 v18, v13, v12, s38                              // 000000002418: D1ED0012 009A190D
	v_perm_b32 v19, v15, v14, s38                              // 000000002420: D1ED0013 009A1D0F
	s_nop 1                                                    // 000000002428: BF800001
	s_mul_i32 s25, s24, 0x100                                  // 00000000242C: 9219FF18 00000100
	s_lshl_b32 s25, s25, 2                                     // 000000002434: 8E198219
	v_mov_b32_e32 v20, v0                                      // 000000002438: 7E280300
	v_lshlrev_b32_e32 v20, 2, v20                              // 00000000243C: 24282882
	v_add_u32_e64 v20, v20, s25                                // 000000002440: D1340014 00003314
	v_add_u32_e32 v21, 0x100, v20                              // 000000002448: 682A28FF 00000100
	ds_write_b32 v20, v18                                      // 000000002450: D81A0000 00001214
	ds_write_b32 v21, v19                                      // 000000002458: D81A0000 00001315
	s_barrier                                                  // 000000002460: BF8A0000
	v_lshrrev_b32_e32 v20, 4, v0                               // 000000002464: 20280084
	v_and_b32_e64 v21, v20, 1                                  // 000000002468: D1130015 00010314
	v_lshrrev_b32_e32 v22, 1, v20                              // 000000002470: 202C2881
	v_lshlrev_b32_e32 v20, 1, v21                              // 000000002474: 24282A81
	v_add_u32_e32 v20, v20, v22                                // 000000002478: 68282D14
	v_lshlrev_b32_e32 v20, 7, v20                              // 00000000247C: 24282887
	v_and_b32_e64 v21, v0, 15                                  // 000000002480: D1130015 00011F00
	v_lshlrev_b32_e32 v21, 2, v21                              // 000000002488: 242A2A82
	v_add_u32_e32 v20, v21, v20                                // 00000000248C: 68282915
	v_add_u32_e64 v20, v20, s25                                // 000000002490: D1340014 00003314
	v_add_u32_e32 v21, 64, v20                                 // 000000002498: 682A28C0
	ds_read_b32 v18, v20                                       // 00000000249C: D86C0000 12000014
	ds_read_b32 v19, v21                                       // 0000000024A4: D86C0000 13000015
	s_barrier                                                  // 0000000024AC: BF8A0000
	s_nop 1                                                    // 0000000024B0: BF800001
	s_mul_i32 s25, s11, 0                                      // 0000000024B4: 9219800B
	s_lshl_b32 s25, s25, 2                                     // 0000000024B8: 8E198219
	s_lshl_b32 s26, 1, 7                                       // 0000000024BC: 8E1A8781
	v_add_u32_e32 v7, s25, v6                                  // 0000000024C0: 680E0C19
	v_add_u32_e32 v7, s26, v7                                  // 0000000024C4: 680E0E1A
	s_mov_b64 exec, s[32:33]                                   // 0000000024C8: BEFE0120
	buffer_store_dword v18, v7, s[16:19], 0 offen              // 0000000024CC: E0701000 80041207
	v_add_u32_e32 v7, s11, v7                                  // 0000000024D4: 680E0E0B
	buffer_store_dword v19, v7, s[16:19], 0 offen              // 0000000024D8: E0701000 80041307
	s_mov_b64 exec, -1                                         // 0000000024E0: BEFE01C1
	s_mul_i32 s25, s8, 1                                       // 0000000024E4: 92198108
	s_lshl_b32 s25, s25, 2                                     // 0000000024E8: 8E198219
	v_add_u32_e32 v5, s25, v4                                  // 0000000024EC: 680A0819
	buffer_load_dwordx4 v[8:11], v5, s[12:15], 0 offen         // 0000000024F0: E05C1000 80030805
	v_add_u32_e32 v5, 0x100, v5                                // 0000000024F8: 680A0AFF 00000100
	s_waitcnt vmcnt(0) expcnt(0) lgkmcnt(0)                    // 000000002500: BF8C0000
	s_barrier                                                  // 000000002504: BF8A0000
	v_perm_b32 v16, v9, v8, s38                                // 000000002508: D1ED0010 009A1109
	v_perm_b32 v17, v11, v10, s38                              // 000000002510: D1ED0011 009A150B
	s_nop 1                                                    // 000000002518: BF800001
	s_mul_i32 s25, s24, 0x100                                  // 00000000251C: 9219FF18 00000100
	s_lshl_b32 s25, s25, 2                                     // 000000002524: 8E198219
	v_mov_b32_e32 v20, v0                                      // 000000002528: 7E280300
	v_lshlrev_b32_e32 v20, 2, v20                              // 00000000252C: 24282882
	v_add_u32_e64 v20, v20, s25                                // 000000002530: D1340014 00003314
	v_add_u32_e32 v21, 0x100, v20                              // 000000002538: 682A28FF 00000100
	ds_write_b32 v20, v16                                      // 000000002540: D81A0000 00001014
	ds_write_b32 v21, v17                                      // 000000002548: D81A0000 00001115
	s_barrier                                                  // 000000002550: BF8A0000
	v_lshrrev_b32_e32 v20, 4, v0                               // 000000002554: 20280084
	v_and_b32_e64 v21, v20, 1                                  // 000000002558: D1130015 00010314
	v_lshrrev_b32_e32 v22, 1, v20                              // 000000002560: 202C2881
	v_lshlrev_b32_e32 v20, 1, v21                              // 000000002564: 24282A81
	v_add_u32_e32 v20, v20, v22                                // 000000002568: 68282D14
	v_lshlrev_b32_e32 v20, 7, v20                              // 00000000256C: 24282887
	v_and_b32_e64 v21, v0, 15                                  // 000000002570: D1130015 00011F00
	v_lshlrev_b32_e32 v21, 2, v21                              // 000000002578: 242A2A82
	v_add_u32_e32 v20, v21, v20                                // 00000000257C: 68282915
	v_add_u32_e64 v20, v20, s25                                // 000000002580: D1340014 00003314
	v_add_u32_e32 v21, 64, v20                                 // 000000002588: 682A28C0
	ds_read_b32 v16, v20                                       // 00000000258C: D86C0000 10000014
	ds_read_b32 v17, v21                                       // 000000002594: D86C0000 11000015
	s_barrier                                                  // 00000000259C: BF8A0000
	s_nop 1                                                    // 0000000025A0: BF800001
	s_mul_i32 s25, s11, 1                                      // 0000000025A4: 9219810B
	s_lshl_b32 s25, s25, 2                                     // 0000000025A8: 8E198219
	s_lshl_b32 s26, 0, 7                                       // 0000000025AC: 8E1A8780
	v_add_u32_e32 v7, s25, v6                                  // 0000000025B0: 680E0C19
	v_add_u32_e32 v7, s26, v7                                  // 0000000025B4: 680E0E1A
	buffer_store_dword v16, v7, s[16:19], 0 offen              // 0000000025B8: E0701000 80041007
	v_add_u32_e32 v7, s11, v7                                  // 0000000025C0: 680E0E0B
	buffer_store_dword v17, v7, s[16:19], 0 offen              // 0000000025C4: E0701000 80041107
	v_mov_b32_e32 v12, 0                                       // 0000000025CC: 7E180280
	v_mov_b32_e32 v13, 0                                       // 0000000025D0: 7E1A0280
	v_mov_b32_e32 v14, 0                                       // 0000000025D4: 7E1C0280
	v_mov_b32_e32 v15, 0                                       // 0000000025D8: 7E1E0280
	s_mov_b64 exec, s[30:31]                                   // 0000000025DC: BEFE011E
	buffer_load_dwordx4 v[12:15], v5, s[12:15], 0 offen        // 0000000025E0: E05C1000 80030C05
	s_mov_b64 exec, -1                                         // 0000000025E8: BEFE01C1
	v_add_u32_e32 v5, 0x100, v5                                // 0000000025EC: 680A0AFF 00000100
	s_waitcnt vmcnt(0) expcnt(0) lgkmcnt(0)                    // 0000000025F4: BF8C0000
	s_barrier                                                  // 0000000025F8: BF8A0000
	v_perm_b32 v18, v13, v12, s38                              // 0000000025FC: D1ED0012 009A190D
	v_perm_b32 v19, v15, v14, s38                              // 000000002604: D1ED0013 009A1D0F
	s_nop 1                                                    // 00000000260C: BF800001
	s_mul_i32 s25, s24, 0x100                                  // 000000002610: 9219FF18 00000100
	s_lshl_b32 s25, s25, 2                                     // 000000002618: 8E198219
	v_mov_b32_e32 v20, v0                                      // 00000000261C: 7E280300
	v_lshlrev_b32_e32 v20, 2, v20                              // 000000002620: 24282882
	v_add_u32_e64 v20, v20, s25                                // 000000002624: D1340014 00003314
	v_add_u32_e32 v21, 0x100, v20                              // 00000000262C: 682A28FF 00000100
	ds_write_b32 v20, v18                                      // 000000002634: D81A0000 00001214
	ds_write_b32 v21, v19                                      // 00000000263C: D81A0000 00001315
	s_barrier                                                  // 000000002644: BF8A0000
	v_lshrrev_b32_e32 v20, 4, v0                               // 000000002648: 20280084
	v_and_b32_e64 v21, v20, 1                                  // 00000000264C: D1130015 00010314
	v_lshrrev_b32_e32 v22, 1, v20                              // 000000002654: 202C2881
	v_lshlrev_b32_e32 v20, 1, v21                              // 000000002658: 24282A81
	v_add_u32_e32 v20, v20, v22                                // 00000000265C: 68282D14
	v_lshlrev_b32_e32 v20, 7, v20                              // 000000002660: 24282887
	v_and_b32_e64 v21, v0, 15                                  // 000000002664: D1130015 00011F00
	v_lshlrev_b32_e32 v21, 2, v21                              // 00000000266C: 242A2A82
	v_add_u32_e32 v20, v21, v20                                // 000000002670: 68282915
	v_add_u32_e64 v20, v20, s25                                // 000000002674: D1340014 00003314
	v_add_u32_e32 v21, 64, v20                                 // 00000000267C: 682A28C0
	ds_read_b32 v18, v20                                       // 000000002680: D86C0000 12000014
	ds_read_b32 v19, v21                                       // 000000002688: D86C0000 13000015
	s_barrier                                                  // 000000002690: BF8A0000
	s_nop 1                                                    // 000000002694: BF800001
	s_mul_i32 s25, s11, 1                                      // 000000002698: 9219810B
	s_lshl_b32 s25, s25, 2                                     // 00000000269C: 8E198219
	s_lshl_b32 s26, 1, 7                                       // 0000000026A0: 8E1A8781
	v_add_u32_e32 v7, s25, v6                                  // 0000000026A4: 680E0C19
	v_add_u32_e32 v7, s26, v7                                  // 0000000026A8: 680E0E1A
	s_mov_b64 exec, s[32:33]                                   // 0000000026AC: BEFE0120
	buffer_store_dword v18, v7, s[16:19], 0 offen              // 0000000026B0: E0701000 80041207
	v_add_u32_e32 v7, s11, v7                                  // 0000000026B8: 680E0E0B
	buffer_store_dword v19, v7, s[16:19], 0 offen              // 0000000026BC: E0701000 80041307
	s_mov_b64 exec, -1                                         // 0000000026C4: BEFE01C1
	s_mul_i32 s25, s8, 2                                       // 0000000026C8: 92198208
	s_lshl_b32 s25, s25, 2                                     // 0000000026CC: 8E198219
	v_add_u32_e32 v5, s25, v4                                  // 0000000026D0: 680A0819
	buffer_load_dwordx4 v[8:11], v5, s[12:15], 0 offen         // 0000000026D4: E05C1000 80030805
	v_add_u32_e32 v5, 0x100, v5                                // 0000000026DC: 680A0AFF 00000100
	s_waitcnt vmcnt(0) expcnt(0) lgkmcnt(0)                    // 0000000026E4: BF8C0000
	s_barrier                                                  // 0000000026E8: BF8A0000
	v_perm_b32 v16, v9, v8, s38                                // 0000000026EC: D1ED0010 009A1109
	v_perm_b32 v17, v11, v10, s38                              // 0000000026F4: D1ED0011 009A150B
	s_nop 1                                                    // 0000000026FC: BF800001
	s_mul_i32 s25, s24, 0x100                                  // 000000002700: 9219FF18 00000100
	s_lshl_b32 s25, s25, 2                                     // 000000002708: 8E198219
	v_mov_b32_e32 v20, v0                                      // 00000000270C: 7E280300
	v_lshlrev_b32_e32 v20, 2, v20                              // 000000002710: 24282882
	v_add_u32_e64 v20, v20, s25                                // 000000002714: D1340014 00003314
	v_add_u32_e32 v21, 0x100, v20                              // 00000000271C: 682A28FF 00000100
	ds_write_b32 v20, v16                                      // 000000002724: D81A0000 00001014
	ds_write_b32 v21, v17                                      // 00000000272C: D81A0000 00001115
	s_barrier                                                  // 000000002734: BF8A0000
	v_lshrrev_b32_e32 v20, 4, v0                               // 000000002738: 20280084
	v_and_b32_e64 v21, v20, 1                                  // 00000000273C: D1130015 00010314
	v_lshrrev_b32_e32 v22, 1, v20                              // 000000002744: 202C2881
	v_lshlrev_b32_e32 v20, 1, v21                              // 000000002748: 24282A81
	v_add_u32_e32 v20, v20, v22                                // 00000000274C: 68282D14
	v_lshlrev_b32_e32 v20, 7, v20                              // 000000002750: 24282887
	v_and_b32_e64 v21, v0, 15                                  // 000000002754: D1130015 00011F00
	v_lshlrev_b32_e32 v21, 2, v21                              // 00000000275C: 242A2A82
	v_add_u32_e32 v20, v21, v20                                // 000000002760: 68282915
	v_add_u32_e64 v20, v20, s25                                // 000000002764: D1340014 00003314
	v_add_u32_e32 v21, 64, v20                                 // 00000000276C: 682A28C0
	ds_read_b32 v16, v20                                       // 000000002770: D86C0000 10000014
	ds_read_b32 v17, v21                                       // 000000002778: D86C0000 11000015
	s_barrier                                                  // 000000002780: BF8A0000
	s_nop 1                                                    // 000000002784: BF800001
	s_mul_i32 s25, s11, 2                                      // 000000002788: 9219820B
	s_lshl_b32 s25, s25, 2                                     // 00000000278C: 8E198219
	s_lshl_b32 s26, 0, 7                                       // 000000002790: 8E1A8780
	v_add_u32_e32 v7, s25, v6                                  // 000000002794: 680E0C19
	v_add_u32_e32 v7, s26, v7                                  // 000000002798: 680E0E1A
	buffer_store_dword v16, v7, s[16:19], 0 offen              // 00000000279C: E0701000 80041007
	v_add_u32_e32 v7, s11, v7                                  // 0000000027A4: 680E0E0B
	buffer_store_dword v17, v7, s[16:19], 0 offen              // 0000000027A8: E0701000 80041107
	v_mov_b32_e32 v12, 0                                       // 0000000027B0: 7E180280
	v_mov_b32_e32 v13, 0                                       // 0000000027B4: 7E1A0280
	v_mov_b32_e32 v14, 0                                       // 0000000027B8: 7E1C0280
	v_mov_b32_e32 v15, 0                                       // 0000000027BC: 7E1E0280
	s_mov_b64 exec, s[30:31]                                   // 0000000027C0: BEFE011E
	buffer_load_dwordx4 v[12:15], v5, s[12:15], 0 offen        // 0000000027C4: E05C1000 80030C05
	s_mov_b64 exec, -1                                         // 0000000027CC: BEFE01C1
	v_add_u32_e32 v5, 0x100, v5                                // 0000000027D0: 680A0AFF 00000100
	s_waitcnt vmcnt(0) expcnt(0) lgkmcnt(0)                    // 0000000027D8: BF8C0000
	s_barrier                                                  // 0000000027DC: BF8A0000
	v_perm_b32 v18, v13, v12, s38                              // 0000000027E0: D1ED0012 009A190D
	v_perm_b32 v19, v15, v14, s38                              // 0000000027E8: D1ED0013 009A1D0F
	s_nop 1                                                    // 0000000027F0: BF800001
	s_mul_i32 s25, s24, 0x100                                  // 0000000027F4: 9219FF18 00000100
	s_lshl_b32 s25, s25, 2                                     // 0000000027FC: 8E198219
	v_mov_b32_e32 v20, v0                                      // 000000002800: 7E280300
	v_lshlrev_b32_e32 v20, 2, v20                              // 000000002804: 24282882
	v_add_u32_e64 v20, v20, s25                                // 000000002808: D1340014 00003314
	v_add_u32_e32 v21, 0x100, v20                              // 000000002810: 682A28FF 00000100
	ds_write_b32 v20, v18                                      // 000000002818: D81A0000 00001214
	ds_write_b32 v21, v19                                      // 000000002820: D81A0000 00001315
	s_barrier                                                  // 000000002828: BF8A0000
	v_lshrrev_b32_e32 v20, 4, v0                               // 00000000282C: 20280084
	v_and_b32_e64 v21, v20, 1                                  // 000000002830: D1130015 00010314
	v_lshrrev_b32_e32 v22, 1, v20                              // 000000002838: 202C2881
	v_lshlrev_b32_e32 v20, 1, v21                              // 00000000283C: 24282A81
	v_add_u32_e32 v20, v20, v22                                // 000000002840: 68282D14
	v_lshlrev_b32_e32 v20, 7, v20                              // 000000002844: 24282887
	v_and_b32_e64 v21, v0, 15                                  // 000000002848: D1130015 00011F00
	v_lshlrev_b32_e32 v21, 2, v21                              // 000000002850: 242A2A82
	v_add_u32_e32 v20, v21, v20                                // 000000002854: 68282915
	v_add_u32_e64 v20, v20, s25                                // 000000002858: D1340014 00003314
	v_add_u32_e32 v21, 64, v20                                 // 000000002860: 682A28C0
	ds_read_b32 v18, v20                                       // 000000002864: D86C0000 12000014
	ds_read_b32 v19, v21                                       // 00000000286C: D86C0000 13000015
	s_barrier                                                  // 000000002874: BF8A0000
	s_nop 1                                                    // 000000002878: BF800001
	s_mul_i32 s25, s11, 2                                      // 00000000287C: 9219820B
	s_lshl_b32 s25, s25, 2                                     // 000000002880: 8E198219
	s_lshl_b32 s26, 1, 7                                       // 000000002884: 8E1A8781
	v_add_u32_e32 v7, s25, v6                                  // 000000002888: 680E0C19
	v_add_u32_e32 v7, s26, v7                                  // 00000000288C: 680E0E1A
	s_mov_b64 exec, s[32:33]                                   // 000000002890: BEFE0120
	buffer_store_dword v18, v7, s[16:19], 0 offen              // 000000002894: E0701000 80041207
	v_add_u32_e32 v7, s11, v7                                  // 00000000289C: 680E0E0B
	buffer_store_dword v19, v7, s[16:19], 0 offen              // 0000000028A0: E0701000 80041307
	s_mov_b64 exec, -1                                         // 0000000028A8: BEFE01C1
	s_mul_i32 s25, s8, 3                                       // 0000000028AC: 92198308
	s_lshl_b32 s25, s25, 2                                     // 0000000028B0: 8E198219
	v_add_u32_e32 v5, s25, v4                                  // 0000000028B4: 680A0819
	buffer_load_dwordx4 v[8:11], v5, s[12:15], 0 offen         // 0000000028B8: E05C1000 80030805
	v_add_u32_e32 v5, 0x100, v5                                // 0000000028C0: 680A0AFF 00000100
	s_waitcnt vmcnt(0) expcnt(0) lgkmcnt(0)                    // 0000000028C8: BF8C0000
	s_barrier                                                  // 0000000028CC: BF8A0000
	v_perm_b32 v16, v9, v8, s38                                // 0000000028D0: D1ED0010 009A1109
	v_perm_b32 v17, v11, v10, s38                              // 0000000028D8: D1ED0011 009A150B
	s_nop 1                                                    // 0000000028E0: BF800001
	s_mul_i32 s25, s24, 0x100                                  // 0000000028E4: 9219FF18 00000100
	s_lshl_b32 s25, s25, 2                                     // 0000000028EC: 8E198219
	v_mov_b32_e32 v20, v0                                      // 0000000028F0: 7E280300
	v_lshlrev_b32_e32 v20, 2, v20                              // 0000000028F4: 24282882
	v_add_u32_e64 v20, v20, s25                                // 0000000028F8: D1340014 00003314
	v_add_u32_e32 v21, 0x100, v20                              // 000000002900: 682A28FF 00000100
	ds_write_b32 v20, v16                                      // 000000002908: D81A0000 00001014
	ds_write_b32 v21, v17                                      // 000000002910: D81A0000 00001115
	s_barrier                                                  // 000000002918: BF8A0000
	v_lshrrev_b32_e32 v20, 4, v0                               // 00000000291C: 20280084
	v_and_b32_e64 v21, v20, 1                                  // 000000002920: D1130015 00010314
	v_lshrrev_b32_e32 v22, 1, v20                              // 000000002928: 202C2881
	v_lshlrev_b32_e32 v20, 1, v21                              // 00000000292C: 24282A81
	v_add_u32_e32 v20, v20, v22                                // 000000002930: 68282D14
	v_lshlrev_b32_e32 v20, 7, v20                              // 000000002934: 24282887
	v_and_b32_e64 v21, v0, 15                                  // 000000002938: D1130015 00011F00
	v_lshlrev_b32_e32 v21, 2, v21                              // 000000002940: 242A2A82
	v_add_u32_e32 v20, v21, v20                                // 000000002944: 68282915
	v_add_u32_e64 v20, v20, s25                                // 000000002948: D1340014 00003314
	v_add_u32_e32 v21, 64, v20                                 // 000000002950: 682A28C0
	ds_read_b32 v16, v20                                       // 000000002954: D86C0000 10000014
	ds_read_b32 v17, v21                                       // 00000000295C: D86C0000 11000015
	s_barrier                                                  // 000000002964: BF8A0000
	s_nop 1                                                    // 000000002968: BF800001
	s_mul_i32 s25, s11, 3                                      // 00000000296C: 9219830B
	s_lshl_b32 s25, s25, 2                                     // 000000002970: 8E198219
	s_lshl_b32 s26, 0, 7                                       // 000000002974: 8E1A8780
	v_add_u32_e32 v7, s25, v6                                  // 000000002978: 680E0C19
	v_add_u32_e32 v7, s26, v7                                  // 00000000297C: 680E0E1A
	buffer_store_dword v16, v7, s[16:19], 0 offen              // 000000002980: E0701000 80041007
	v_add_u32_e32 v7, s11, v7                                  // 000000002988: 680E0E0B
	buffer_store_dword v17, v7, s[16:19], 0 offen              // 00000000298C: E0701000 80041107
	v_mov_b32_e32 v12, 0                                       // 000000002994: 7E180280
	v_mov_b32_e32 v13, 0                                       // 000000002998: 7E1A0280
	v_mov_b32_e32 v14, 0                                       // 00000000299C: 7E1C0280
	v_mov_b32_e32 v15, 0                                       // 0000000029A0: 7E1E0280
	s_mov_b64 exec, s[30:31]                                   // 0000000029A4: BEFE011E
	buffer_load_dwordx4 v[12:15], v5, s[12:15], 0 offen        // 0000000029A8: E05C1000 80030C05
	s_mov_b64 exec, -1                                         // 0000000029B0: BEFE01C1
	v_add_u32_e32 v5, 0x100, v5                                // 0000000029B4: 680A0AFF 00000100
	s_waitcnt vmcnt(0) expcnt(0) lgkmcnt(0)                    // 0000000029BC: BF8C0000
	s_barrier                                                  // 0000000029C0: BF8A0000
	v_perm_b32 v18, v13, v12, s38                              // 0000000029C4: D1ED0012 009A190D
	v_perm_b32 v19, v15, v14, s38                              // 0000000029CC: D1ED0013 009A1D0F
	s_nop 1                                                    // 0000000029D4: BF800001
	s_mul_i32 s25, s24, 0x100                                  // 0000000029D8: 9219FF18 00000100
	s_lshl_b32 s25, s25, 2                                     // 0000000029E0: 8E198219
	v_mov_b32_e32 v20, v0                                      // 0000000029E4: 7E280300
	v_lshlrev_b32_e32 v20, 2, v20                              // 0000000029E8: 24282882
	v_add_u32_e64 v20, v20, s25                                // 0000000029EC: D1340014 00003314
	v_add_u32_e32 v21, 0x100, v20                              // 0000000029F4: 682A28FF 00000100
	ds_write_b32 v20, v18                                      // 0000000029FC: D81A0000 00001214
	ds_write_b32 v21, v19                                      // 000000002A04: D81A0000 00001315
	s_barrier                                                  // 000000002A0C: BF8A0000
	v_lshrrev_b32_e32 v20, 4, v0                               // 000000002A10: 20280084
	v_and_b32_e64 v21, v20, 1                                  // 000000002A14: D1130015 00010314
	v_lshrrev_b32_e32 v22, 1, v20                              // 000000002A1C: 202C2881
	v_lshlrev_b32_e32 v20, 1, v21                              // 000000002A20: 24282A81
	v_add_u32_e32 v20, v20, v22                                // 000000002A24: 68282D14
	v_lshlrev_b32_e32 v20, 7, v20                              // 000000002A28: 24282887
	v_and_b32_e64 v21, v0, 15                                  // 000000002A2C: D1130015 00011F00
	v_lshlrev_b32_e32 v21, 2, v21                              // 000000002A34: 242A2A82
	v_add_u32_e32 v20, v21, v20                                // 000000002A38: 68282915
	v_add_u32_e64 v20, v20, s25                                // 000000002A3C: D1340014 00003314
	v_add_u32_e32 v21, 64, v20                                 // 000000002A44: 682A28C0
	ds_read_b32 v18, v20                                       // 000000002A48: D86C0000 12000014
	ds_read_b32 v19, v21                                       // 000000002A50: D86C0000 13000015
	s_barrier                                                  // 000000002A58: BF8A0000
	s_nop 1                                                    // 000000002A5C: BF800001
	s_mul_i32 s25, s11, 3                                      // 000000002A60: 9219830B
	s_lshl_b32 s25, s25, 2                                     // 000000002A64: 8E198219
	s_lshl_b32 s26, 1, 7                                       // 000000002A68: 8E1A8781
	v_add_u32_e32 v7, s25, v6                                  // 000000002A6C: 680E0C19
	v_add_u32_e32 v7, s26, v7                                  // 000000002A70: 680E0E1A
	s_mov_b64 exec, s[32:33]                                   // 000000002A74: BEFE0120
	buffer_store_dword v18, v7, s[16:19], 0 offen              // 000000002A78: E0701000 80041207
	v_add_u32_e32 v7, s11, v7                                  // 000000002A80: 680E0E0B
	buffer_store_dword v19, v7, s[16:19], 0 offen              // 000000002A84: E0701000 80041307
	s_mov_b64 exec, -1                                         // 000000002A8C: BEFE01C1
	s_waitcnt vmcnt(0) expcnt(0) lgkmcnt(0)                    // 000000002A90: BF8C0000
	s_endpgm                                                   // 000000002A94: BF810000
